;; amdgpu-corpus repo=ROCm/rocFFT kind=compiled arch=gfx1030 opt=O3
	.text
	.amdgcn_target "amdgcn-amd-amdhsa--gfx1030"
	.amdhsa_code_object_version 6
	.protected	fft_rtc_fwd_len17_factors_17_wgs_120_tpt_1_sp_op_CI_CI_sbrc_xy_z_unaligned_dirReg ; -- Begin function fft_rtc_fwd_len17_factors_17_wgs_120_tpt_1_sp_op_CI_CI_sbrc_xy_z_unaligned_dirReg
	.globl	fft_rtc_fwd_len17_factors_17_wgs_120_tpt_1_sp_op_CI_CI_sbrc_xy_z_unaligned_dirReg
	.p2align	8
	.type	fft_rtc_fwd_len17_factors_17_wgs_120_tpt_1_sp_op_CI_CI_sbrc_xy_z_unaligned_dirReg,@function
fft_rtc_fwd_len17_factors_17_wgs_120_tpt_1_sp_op_CI_CI_sbrc_xy_z_unaligned_dirReg: ; @fft_rtc_fwd_len17_factors_17_wgs_120_tpt_1_sp_op_CI_CI_sbrc_xy_z_unaligned_dirReg
; %bb.0:
	s_clause 0x1
	s_load_dwordx4 s[0:3], s[4:5], 0x10
	s_load_dwordx2 s[20:21], s[4:5], 0x20
	s_waitcnt lgkmcnt(0)
	s_load_dwordx4 s[8:11], s[0:1], 0x8
	s_clause 0x1
	s_load_dwordx4 s[12:15], s[2:3], 0x0
	s_load_dwordx2 s[16:17], s[2:3], 0x10
	s_waitcnt lgkmcnt(0)
	s_add_i32 s0, s10, -1
	s_mul_hi_u32 s0, s0, 0x88888889
	s_lshr_b32 s0, s0, 6
	s_add_i32 s0, s0, 1
	s_mul_i32 s0, s0, s8
	v_cvt_f32_u32_e32 v1, s0
	s_sub_i32 s7, 0, s0
	v_rcp_iflag_f32_e32 v1, v1
	v_mul_f32_e32 v1, 0x4f7ffffe, v1
	v_cvt_u32_f32_e32 v1, v1
	v_readfirstlane_b32 s1, v1
	v_cvt_f32_u32_e32 v1, s8
	s_mul_i32 s7, s7, s1
	s_mul_hi_u32 s7, s1, s7
	s_add_i32 s1, s1, s7
	s_mul_hi_u32 s1, s6, s1
	s_mul_i32 s7, s1, s0
	s_add_i32 s11, s1, 1
	s_sub_i32 s7, s6, s7
	s_sub_i32 s15, s7, s0
	s_cmp_ge_u32 s7, s0
	s_cselect_b32 s1, s11, s1
	s_cselect_b32 s7, s15, s7
	s_add_i32 s11, s1, 1
	s_cmp_ge_u32 s7, s0
	s_mov_b32 s7, 0
	s_cselect_b32 s11, s11, s1
	s_mov_b32 s19, s7
	s_mul_i32 s0, s11, s0
	s_sub_i32 s18, s6, s0
	v_cmp_lt_u64_e64 s0, s[18:19], s[8:9]
	s_and_b32 vcc_lo, exec_lo, s0
	s_mov_b64 s[0:1], 0
	s_cbranch_vccnz .LBB0_2
; %bb.1:
	v_rcp_iflag_f32_e32 v2, v1
	s_sub_i32 s1, 0, s8
	v_mul_f32_e32 v2, 0x4f7ffffe, v2
	v_cvt_u32_f32_e32 v2, v2
	v_readfirstlane_b32 s0, v2
	s_mul_i32 s1, s1, s0
	s_mul_hi_u32 s1, s0, s1
	s_add_i32 s0, s0, s1
	s_mul_hi_u32 s0, s18, s0
	s_mul_i32 s1, s0, s8
	s_add_i32 s15, s0, 1
	s_sub_i32 s1, s18, s1
	s_sub_i32 s17, s1, s8
	s_cmp_ge_u32 s1, s8
	s_cselect_b32 s0, s15, s0
	s_cselect_b32 s1, s17, s1
	s_add_i32 s15, s0, 1
	s_cmp_ge_u32 s1, s8
	s_cselect_b32 s0, s15, s0
.LBB0_2:
	s_load_dwordx2 s[18:19], s[4:5], 0x58
	v_cmp_lt_u64_e64 s1, s[6:7], s[8:9]
	s_and_b32 vcc_lo, exec_lo, s1
	s_cbranch_vccnz .LBB0_4
; %bb.3:
	v_rcp_iflag_f32_e32 v1, v1
	s_sub_i32 s7, 0, s8
	v_mul_f32_e32 v1, 0x4f7ffffe, v1
	v_cvt_u32_f32_e32 v1, v1
	v_readfirstlane_b32 s1, v1
	s_mul_i32 s7, s7, s1
	s_mul_hi_u32 s7, s1, s7
	s_add_i32 s1, s1, s7
	s_mul_hi_u32 s1, s6, s1
	s_mul_i32 s1, s1, s8
	s_sub_i32 s1, s6, s1
	s_sub_i32 s6, s1, s8
	s_cmp_ge_u32 s1, s8
	s_cselect_b32 s1, s6, s1
	s_sub_i32 s6, s1, s8
	s_cmp_ge_u32 s1, s8
	s_cselect_b32 s6, s6, s1
.LBB0_4:
	s_load_dwordx2 s[8:9], s[4:5], 0x8
	s_mul_i32 s7, s0, 0x78
	s_mul_i32 s14, s6, s14
	s_mul_i32 s15, s7, s16
	s_mov_b32 s17, -1
	s_add_i32 s14, s14, s15
	s_waitcnt lgkmcnt(0)
	s_lshl_b64 s[0:1], s[8:9], 3
	s_add_u32 s2, s2, s0
	s_addc_u32 s3, s3, s1
	s_load_dwordx2 s[2:3], s[2:3], 0x0
	s_waitcnt lgkmcnt(0)
	s_mul_i32 s3, s3, s11
	s_mul_hi_u32 s8, s2, s11
	s_mul_i32 s2, s2, s11
	s_add_i32 s8, s8, s3
	s_add_u32 s22, s2, s14
	s_addc_u32 s23, s8, 0
	s_add_u32 s8, s20, s0
	s_addc_u32 s9, s21, s1
	s_clause 0x2
	s_load_dwordx4 s[0:3], s[20:21], 0x0
	s_load_dwordx2 s[14:15], s[20:21], 0x10
	s_load_dwordx2 s[8:9], s[8:9], 0x0
	s_waitcnt lgkmcnt(0)
	s_add_i32 s3, s7, 0x78
	s_mov_b32 s15, 0
	s_cmp_le_u32 s3, s10
	s_cselect_b32 s3, -1, 0
	s_and_b32 vcc_lo, exec_lo, s3
	s_cbranch_vccnz .LBB0_8
; %bb.5:
	s_lshl_b64 s[20:21], s[22:23], 3
	v_mov_b32_e32 v2, 0
	v_mov_b32_e32 v3, 0xf0f1
	;; [unrolled: 1-line block ×3, first 2 shown]
	s_add_u32 s17, s18, s20
	s_addc_u32 s20, s19, s21
	s_inst_prefetch 0x1
	.p2align	6
.LBB0_6:                                ; =>This Inner Loop Header: Depth=1
	v_mul_u32_u24_sdwa v1, v4, v3 dst_sel:DWORD dst_unused:UNUSED_PAD src0_sel:WORD_0 src1_sel:DWORD
	v_lshrrev_b32_e32 v9, 20, v1
	v_mul_lo_u16 v1, v9, 17
	v_sub_nc_u16 v10, v4, v1
	v_add_nc_u32_e32 v4, 0x78, v4
	v_and_b32_e32 v7, 0xffff, v10
	v_mad_u64_u32 v[5:6], null, s12, v7, 0
	v_mov_b32_e32 v1, v6
	v_mad_u64_u32 v[6:7], null, s13, v7, v[1:2]
	v_mul_lo_u32 v1, s16, v9
	v_lshlrev_b64 v[5:6], 3, v[5:6]
	v_lshlrev_b64 v[7:8], 3, v[1:2]
	v_add_co_u32 v1, vcc_lo, s17, v5
	v_add_co_ci_u32_e32 v6, vcc_lo, s20, v6, vcc_lo
	v_add_co_u32 v5, vcc_lo, v1, v7
	v_add_co_ci_u32_e32 v6, vcc_lo, v6, v8, vcc_lo
	v_mad_u16 v1, 0x78, v10, v9
	v_cmp_lt_u32_e32 vcc_lo, 0x7f7, v4
	global_load_dwordx2 v[5:6], v[5:6], off
	v_and_b32_e32 v1, 0xffff, v1
	s_or_b32 s15, vcc_lo, s15
	v_lshl_add_u32 v1, v1, 3, 0
	s_waitcnt vmcnt(0)
	ds_write_b64 v1, v[5:6]
	s_andn2_b32 exec_lo, exec_lo, s15
	s_cbranch_execnz .LBB0_6
; %bb.7:
	s_inst_prefetch 0x2
	s_or_b32 exec_lo, exec_lo, s15
	s_mov_b32 s17, 0
.LBB0_8:
	s_and_b32 vcc_lo, exec_lo, s17
	s_cbranch_vccz .LBB0_10
; %bb.9:
	v_mov_b32_e32 v9, 0xf10
	v_add_nc_u16 v1, v0, 0x78
	v_add_nc_u16 v14, v0, 0xf0
	;; [unrolled: 1-line block ×3, first 2 shown]
	v_mov_b32_e32 v2, 0
	v_mul_u32_u24_sdwa v3, v0, v9 dst_sel:DWORD dst_unused:UNUSED_PAD src0_sel:WORD_0 src1_sel:DWORD
	v_mul_u32_u24_sdwa v4, v1, v9 dst_sel:DWORD dst_unused:UNUSED_PAD src0_sel:WORD_0 src1_sel:DWORD
	s_lshl_b64 s[20:21], s[22:23], 3
	v_mul_u32_u24_sdwa v6, v15, v9 dst_sel:DWORD dst_unused:UNUSED_PAD src0_sel:WORD_0 src1_sel:DWORD
	v_add_nc_u16 v27, v0, 0x1e0
	v_lshrrev_b32_e32 v7, 16, v3
	v_lshrrev_b32_e32 v8, 16, v4
	v_mul_u32_u24_sdwa v4, v14, v9 dst_sel:DWORD dst_unused:UNUSED_PAD src0_sel:WORD_0 src1_sel:DWORD
	v_lshrrev_b32_e32 v11, 16, v6
	s_add_u32 s15, s18, s20
	v_mul_lo_u16 v3, v7, 17
	v_mul_lo_u16 v5, v8, 17
	v_lshrrev_b32_e32 v10, 16, v4
	v_mul_lo_u16 v18, v11, 17
	s_addc_u32 s17, s19, s21
	v_sub_nc_u16 v12, v0, v3
	v_sub_nc_u16 v13, v1, v5
	v_mul_lo_u32 v1, s16, v7
	v_mul_lo_u16 v17, v10, 17
	v_sub_nc_u16 v15, v15, v18
	v_and_b32_e32 v16, 0xffff, v12
	v_and_b32_e32 v22, 0xffff, v13
	v_mul_u32_u24_sdwa v24, v27, v9 dst_sel:DWORD dst_unused:UNUSED_PAD src0_sel:WORD_0 src1_sel:DWORD
	v_sub_nc_u16 v14, v14, v17
	v_and_b32_e32 v28, 0xffff, v15
	v_mad_u64_u32 v[3:4], null, s12, v16, 0
	v_mad_u64_u32 v[5:6], null, s12, v22, 0
	v_lshlrev_b64 v[17:18], 3, v[1:2]
	v_and_b32_e32 v25, 0xffff, v14
	v_add_nc_u16 v29, v0, 0x258
	v_add_nc_u16 v32, v0, 0x2d0
	;; [unrolled: 1-line block ×4, first 2 shown]
	v_mov_b32_e32 v1, v6
	v_mad_u64_u32 v[19:20], null, s13, v16, v[4:5]
	v_mad_u64_u32 v[20:21], null, s12, v25, 0
	;; [unrolled: 1-line block ×3, first 2 shown]
	v_mul_lo_u32 v1, s16, v8
	v_lshrrev_b32_e32 v16, 16, v24
	v_mov_b32_e32 v4, v19
	v_mad_u64_u32 v[23:24], null, s12, v28, 0
	v_mov_b32_e32 v19, v21
	v_mov_b32_e32 v6, v22
	v_lshlrev_b64 v[3:4], 3, v[3:4]
	v_lshlrev_b64 v[21:22], 3, v[1:2]
	v_mul_u32_u24_sdwa v35, v36, v9 dst_sel:DWORD dst_unused:UNUSED_PAD src0_sel:WORD_0 src1_sel:DWORD
	v_mad_u64_u32 v[25:26], null, s13, v25, v[19:20]
	v_lshlrev_b64 v[5:6], 3, v[5:6]
	v_add_co_u32 v1, vcc_lo, s15, v3
	v_add_co_ci_u32_e32 v4, vcc_lo, s17, v4, vcc_lo
	v_lshrrev_b32_e32 v58, 16, v35
	v_add_co_u32 v5, vcc_lo, s15, v5
	v_add_co_ci_u32_e32 v6, vcc_lo, s17, v6, vcc_lo
	v_add_co_u32 v3, vcc_lo, v1, v17
	v_add_co_ci_u32_e32 v4, vcc_lo, v4, v18, vcc_lo
	v_add_co_u32 v5, vcc_lo, v5, v21
	v_mov_b32_e32 v21, v25
	v_add_co_ci_u32_e32 v6, vcc_lo, v6, v22, vcc_lo
	v_mov_b32_e32 v17, v24
	v_mul_lo_u16 v22, v16, 17
	v_lshlrev_b64 v[18:19], 3, v[20:21]
	v_mul_lo_u32 v1, s16, v10
	v_mul_u32_u24_sdwa v24, v29, v9 dst_sel:DWORD dst_unused:UNUSED_PAD src0_sel:WORD_0 src1_sel:DWORD
	v_add_nc_u16 v44, v0, 0x528
	v_add_nc_u16 v49, v0, 0x618
	;; [unrolled: 1-line block ×3, first 2 shown]
	v_mad_u64_u32 v[20:21], null, s13, v28, v[17:18]
	v_sub_nc_u16 v17, v27, v22
	v_add_co_u32 v27, vcc_lo, s15, v18
	v_lshrrev_b32_e32 v18, 16, v24
	v_lshlrev_b64 v[21:22], 3, v[1:2]
	v_and_b32_e32 v30, 0xffff, v17
	v_add_co_ci_u32_e32 v19, vcc_lo, s17, v19, vcc_lo
	v_mov_b32_e32 v24, v20
	v_mul_lo_u32 v1, s16, v11
	v_mad_u64_u32 v[25:26], null, s12, v30, 0
	v_mul_lo_u16 v20, v18, 17
	v_add_co_u32 v27, vcc_lo, v27, v21
	v_add_co_ci_u32_e32 v28, vcc_lo, v19, v22, vcc_lo
	v_lshlrev_b64 v[21:22], 3, v[23:24]
	v_sub_nc_u16 v19, v29, v20
	v_mov_b32_e32 v20, v26
	v_lshlrev_b64 v[23:24], 3, v[1:2]
	v_mul_u32_u24_sdwa v1, v32, v9 dst_sel:DWORD dst_unused:UNUSED_PAD src0_sel:WORD_0 src1_sel:DWORD
	s_clause 0x1
	global_load_dwordx2 v[3:4], v[3:4], off
	global_load_dwordx2 v[5:6], v[5:6], off
	v_and_b32_e32 v33, 0xffff, v19
	v_mad_u64_u32 v[29:30], null, s13, v30, v[20:21]
	v_lshrrev_b32_e32 v20, 16, v1
	v_add_co_u32 v1, vcc_lo, s15, v21
	v_add_co_ci_u32_e32 v21, vcc_lo, s17, v22, vcc_lo
	v_mad_u64_u32 v[30:31], null, s12, v33, 0
	v_mov_b32_e32 v26, v29
	v_mul_lo_u16 v29, v20, 17
	v_add_co_u32 v22, vcc_lo, v1, v23
	v_add_co_ci_u32_e32 v23, vcc_lo, v21, v24, vcc_lo
	v_sub_nc_u16 v21, v32, v29
	v_mul_lo_u32 v1, s16, v16
	v_lshlrev_b64 v[25:26], 3, v[25:26]
	v_mov_b32_e32 v24, v31
	v_mad_u16 v8, 0x78, v13, v8
	v_and_b32_e32 v34, 0xffff, v21
	v_mad_u64_u32 v[31:32], null, s13, v33, v[24:25]
	v_add_co_u32 v29, vcc_lo, s15, v25
	v_lshlrev_b64 v[24:25], 3, v[1:2]
	v_mad_u64_u32 v[32:33], null, s12, v34, 0
	v_add_co_ci_u32_e32 v26, vcc_lo, s17, v26, vcc_lo
	v_mul_lo_u32 v1, s16, v18
	v_add_co_u32 v24, vcc_lo, v29, v24
	v_add_co_ci_u32_e32 v25, vcc_lo, v26, v25, vcc_lo
	v_mov_b32_e32 v26, v33
	v_lshlrev_b64 v[29:30], 3, v[30:31]
	v_mul_lo_u16 v31, v58, 17
	v_and_b32_e32 v8, 0xffff, v8
	v_mad_u64_u32 v[33:34], null, s13, v34, v[26:27]
	v_lshlrev_b64 v[34:35], 3, v[1:2]
	v_mul_u32_u24_sdwa v1, v37, v9 dst_sel:DWORD dst_unused:UNUSED_PAD src0_sel:WORD_0 src1_sel:DWORD
	v_sub_nc_u16 v59, v36, v31
	v_add_co_u32 v26, vcc_lo, s15, v29
	v_add_co_ci_u32_e32 v30, vcc_lo, s17, v30, vcc_lo
	v_lshrrev_b32_e32 v60, 16, v1
	v_and_b32_e32 v36, 0xffff, v59
	v_add_co_u32 v29, vcc_lo, v26, v34
	v_lshlrev_b64 v[31:32], 3, v[32:33]
	v_mul_lo_u16 v26, v60, 17
	v_mul_lo_u32 v1, s16, v20
	v_mad_u64_u32 v[33:34], null, s12, v36, 0
	v_add_co_ci_u32_e32 v30, vcc_lo, v30, v35, vcc_lo
	v_sub_nc_u16 v61, v37, v26
	v_add_nc_u16 v37, v0, 0x438
	v_add_co_u32 v38, vcc_lo, s15, v31
	v_add_co_ci_u32_e32 v39, vcc_lo, s17, v32, vcc_lo
	v_lshlrev_b64 v[31:32], 3, v[1:2]
	v_mul_u32_u24_sdwa v1, v37, v9 dst_sel:DWORD dst_unused:UNUSED_PAD src0_sel:WORD_0 src1_sel:DWORD
	v_mov_b32_e32 v26, v34
	v_and_b32_e32 v40, 0xffff, v61
	v_lshl_add_u32 v8, v8, 3, 0
	v_lshrrev_b32_e32 v62, 16, v1
	v_mad_u64_u32 v[34:35], null, s13, v36, v[26:27]
	v_mad_u64_u32 v[35:36], null, s12, v40, 0
	v_add_co_u32 v31, vcc_lo, v38, v31
	v_mul_lo_u16 v38, v62, 17
	v_add_co_ci_u32_e32 v32, vcc_lo, v39, v32, vcc_lo
	v_add_nc_u16 v39, v0, 0x4b0
	v_mov_b32_e32 v26, v36
	v_sub_nc_u16 v63, v37, v38
	v_mul_lo_u32 v1, s16, v58
	v_lshlrev_b64 v[33:34], 3, v[33:34]
	v_mul_u32_u24_sdwa v38, v39, v9 dst_sel:DWORD dst_unused:UNUSED_PAD src0_sel:WORD_0 src1_sel:DWORD
	v_mad_u64_u32 v[36:37], null, s13, v40, v[26:27]
	v_and_b32_e32 v40, 0xffff, v63
	v_lshrrev_b32_e32 v64, 16, v38
	v_add_co_u32 v26, vcc_lo, s15, v33
	v_mad_u64_u32 v[37:38], null, s12, v40, 0
	v_add_co_ci_u32_e32 v41, vcc_lo, s17, v34, vcc_lo
	v_lshlrev_b64 v[33:34], 3, v[1:2]
	v_mul_lo_u16 v42, v64, 17
	v_mul_lo_u32 v1, s16, v60
	v_lshlrev_b64 v[35:36], 3, v[35:36]
	v_add_co_u32 v33, vcc_lo, v26, v33
	v_mov_b32_e32 v26, v38
	v_sub_nc_u16 v65, v39, v42
	v_add_co_ci_u32_e32 v34, vcc_lo, v41, v34, vcc_lo
	v_lshlrev_b64 v[41:42], 3, v[1:2]
	v_mad_u64_u32 v[38:39], null, s13, v40, v[26:27]
	v_mul_u32_u24_sdwa v26, v44, v9 dst_sel:DWORD dst_unused:UNUSED_PAD src0_sel:WORD_0 src1_sel:DWORD
	v_and_b32_e32 v43, 0xffff, v65
	v_add_co_u32 v35, vcc_lo, s15, v35
	v_add_co_ci_u32_e32 v36, vcc_lo, s17, v36, vcc_lo
	v_lshrrev_b32_e32 v66, 16, v26
	v_add_nc_u16 v26, v0, 0x5a0
	v_mad_u64_u32 v[39:40], null, s12, v43, 0
	v_add_co_u32 v35, vcc_lo, v35, v41
	v_mul_u32_u24_sdwa v45, v26, v9 dst_sel:DWORD dst_unused:UNUSED_PAD src0_sel:WORD_0 src1_sel:DWORD
	v_add_co_ci_u32_e32 v36, vcc_lo, v36, v42, vcc_lo
	v_mul_lo_u16 v42, v66, 17
	v_mov_b32_e32 v1, v40
	v_lshrrev_b32_e32 v68, 16, v45
	v_lshlrev_b64 v[37:38], 3, v[37:38]
	v_sub_nc_u16 v67, v44, v42
	v_mad_u64_u32 v[40:41], null, s13, v43, v[1:2]
	v_mul_lo_u16 v45, v68, 17
	v_mul_lo_u32 v1, s16, v62
	v_and_b32_e32 v47, 0xffff, v67
	v_add_co_u32 v43, vcc_lo, s15, v37
	v_sub_nc_u16 v69, v26, v45
	v_add_co_ci_u32_e32 v44, vcc_lo, s17, v38, vcc_lo
	v_mad_u64_u32 v[41:42], null, s12, v47, 0
	v_and_b32_e32 v50, 0xffff, v69
	v_lshlrev_b64 v[37:38], 3, v[1:2]
	v_mul_lo_u32 v1, s16, v64
	v_mul_u32_u24_sdwa v26, v49, v9 dst_sel:DWORD dst_unused:UNUSED_PAD src0_sel:WORD_0 src1_sel:DWORD
	v_lshlrev_b64 v[39:40], 3, v[39:40]
	v_mad_u64_u32 v[45:46], null, s12, v50, 0
	v_add_co_u32 v37, vcc_lo, v43, v37
	v_lshrrev_b32_e32 v70, 16, v26
	v_add_co_ci_u32_e32 v38, vcc_lo, v44, v38, vcc_lo
	v_lshlrev_b64 v[43:44], 3, v[1:2]
	v_mov_b32_e32 v1, v42
	v_mov_b32_e32 v26, v46
	v_mul_lo_u16 v46, v70, 17
	v_mad_u64_u32 v[47:48], null, s13, v47, v[1:2]
	v_add_co_u32 v48, vcc_lo, s15, v39
	v_add_co_ci_u32_e32 v51, vcc_lo, s17, v40, vcc_lo
	v_sub_nc_u16 v71, v49, v46
	v_add_co_u32 v43, vcc_lo, v48, v43
	v_add_co_ci_u32_e32 v44, vcc_lo, v51, v44, vcc_lo
	v_and_b32_e32 v51, 0xffff, v71
	v_mov_b32_e32 v42, v47
	v_mad_u64_u32 v[39:40], null, s13, v50, v[26:27]
	v_mul_u32_u24_sdwa v26, v52, v9 dst_sel:DWORD dst_unused:UNUSED_PAD src0_sel:WORD_0 src1_sel:DWORD
	v_mul_lo_u32 v1, s16, v66
	v_mad_u64_u32 v[49:50], null, s12, v51, 0
	v_lshlrev_b64 v[40:41], 3, v[41:42]
	v_lshrrev_b32_e32 v72, 16, v26
	v_mov_b32_e32 v46, v39
	v_lshlrev_b64 v[47:48], 3, v[1:2]
	v_mov_b32_e32 v26, v50
	v_mul_lo_u16 v50, v72, 17
	v_add_co_u32 v42, vcc_lo, s15, v40
	v_add_co_ci_u32_e32 v53, vcc_lo, s17, v41, vcc_lo
	v_mul_lo_u32 v1, s16, v68
	v_sub_nc_u16 v73, v52, v50
	v_add_co_u32 v41, vcc_lo, v42, v47
	v_lshlrev_b64 v[39:40], 3, v[45:46]
	v_add_co_ci_u32_e32 v42, vcc_lo, v53, v48, vcc_lo
	v_mad_u64_u32 v[47:48], null, s13, v51, v[26:27]
	v_add_nc_u16 v26, v0, 0x708
	v_and_b32_e32 v51, 0xffff, v73
	v_lshlrev_b64 v[45:46], 3, v[1:2]
	v_add_co_u32 v1, vcc_lo, s15, v39
	v_mul_u32_u24_sdwa v52, v26, v9 dst_sel:DWORD dst_unused:UNUSED_PAD src0_sel:WORD_0 src1_sel:DWORD
	v_or_b32_e32 v53, 0x780, v0
	v_add_co_ci_u32_e32 v48, vcc_lo, s17, v40, vcc_lo
	v_mad_u64_u32 v[39:40], null, s12, v51, 0
	v_lshrrev_b32_e32 v74, 16, v52
	v_mul_u32_u24_sdwa v52, v53, v9 dst_sel:DWORD dst_unused:UNUSED_PAD src0_sel:WORD_0 src1_sel:DWORD
	v_mov_b32_e32 v50, v47
	v_add_co_u32 v45, vcc_lo, v1, v45
	v_add_co_ci_u32_e32 v46, vcc_lo, v48, v46, vcc_lo
	v_mov_b32_e32 v9, v40
	v_lshrrev_b32_e32 v75, 16, v52
	v_mul_lo_u16 v40, v74, 17
	v_lshlrev_b64 v[47:48], 3, v[49:50]
	v_mul_lo_u32 v1, s16, v70
	v_mad_u64_u32 v[49:50], null, s13, v51, v[9:10]
	v_mul_lo_u16 v9, v75, 17
	v_sub_nc_u16 v76, v26, v40
	v_add_co_u32 v26, vcc_lo, s15, v47
	v_add_co_ci_u32_e32 v54, vcc_lo, s17, v48, vcc_lo
	v_sub_nc_u16 v77, v53, v9
	v_and_b32_e32 v55, 0xffff, v76
	v_mov_b32_e32 v40, v49
	v_lshlrev_b64 v[47:48], 3, v[1:2]
	v_mul_lo_u32 v1, s16, v72
	v_and_b32_e32 v57, 0xffff, v77
	v_mad_u64_u32 v[49:50], null, s12, v55, 0
	v_lshlrev_b64 v[39:40], 3, v[39:40]
	v_add_co_u32 v47, vcc_lo, v26, v47
	v_mad_u64_u32 v[51:52], null, s12, v57, 0
	v_add_co_ci_u32_e32 v48, vcc_lo, v54, v48, vcc_lo
	v_mov_b32_e32 v9, v50
	v_lshlrev_b64 v[53:54], 3, v[1:2]
	s_clause 0x4
	global_load_dwordx2 v[26:27], v[27:28], off
	global_load_dwordx2 v[22:23], v[22:23], off
	;; [unrolled: 1-line block ×5, first 2 shown]
	v_mov_b32_e32 v1, v52
	v_mad_u64_u32 v[55:56], null, s13, v55, v[9:10]
	v_add_co_u32 v9, vcc_lo, s15, v39
	v_mad_u64_u32 v[56:57], null, s13, v57, v[1:2]
	v_mul_lo_u32 v1, s16, v74
	v_add_co_ci_u32_e32 v32, vcc_lo, s17, v40, vcc_lo
	v_mov_b32_e32 v50, v55
	v_add_co_u32 v39, vcc_lo, v9, v53
	v_mov_b32_e32 v52, v56
	v_add_co_ci_u32_e32 v40, vcc_lo, v32, v54, vcc_lo
	v_lshlrev_b64 v[49:50], 3, v[49:50]
	v_lshlrev_b64 v[53:54], 3, v[1:2]
	v_mul_lo_u32 v1, s16, v75
	v_lshlrev_b64 v[51:52], 3, v[51:52]
	s_clause 0x4
	global_load_dwordx2 v[32:33], v[33:34], off
	global_load_dwordx2 v[34:35], v[35:36], off
	;; [unrolled: 1-line block ×5, first 2 shown]
	v_add_co_u32 v9, vcc_lo, s15, v49
	v_add_co_ci_u32_e32 v38, vcc_lo, s17, v50, vcc_lo
	v_add_co_u32 v51, vcc_lo, s15, v51
	v_lshlrev_b64 v[1:2], 3, v[1:2]
	v_add_co_ci_u32_e32 v52, vcc_lo, s17, v52, vcc_lo
	v_add_co_u32 v49, vcc_lo, v9, v53
	v_add_co_ci_u32_e32 v50, vcc_lo, v38, v54, vcc_lo
	v_add_co_u32 v1, vcc_lo, v51, v1
	v_add_co_ci_u32_e32 v2, vcc_lo, v52, v2, vcc_lo
	s_clause 0x4
	global_load_dwordx2 v[45:46], v[45:46], off
	global_load_dwordx2 v[47:48], v[47:48], off
	;; [unrolled: 1-line block ×5, first 2 shown]
	v_mul_lo_u16 v9, 0x78, v12
	v_or_b32_e32 v7, v9, v7
	v_and_b32_e32 v7, 0xffff, v7
	v_lshl_add_u32 v7, v7, 3, 0
	s_waitcnt vmcnt(16)
	ds_write_b64 v7, v[3:4]
	s_waitcnt vmcnt(15)
	ds_write_b64 v8, v[5:6]
	v_mad_u16 v3, 0x78, v14, v10
	v_mad_u16 v4, 0x78, v15, v11
	v_mad_u16 v5, 0x78, v17, v16
	v_mad_u16 v6, 0x78, v19, v18
	v_mad_u16 v7, 0x78, v21, v20
	v_and_b32_e32 v3, 0xffff, v3
	v_and_b32_e32 v4, 0xffff, v4
	v_and_b32_e32 v5, 0xffff, v5
	v_and_b32_e32 v6, 0xffff, v6
	v_and_b32_e32 v7, 0xffff, v7
	v_lshl_add_u32 v3, v3, 3, 0
	v_lshl_add_u32 v4, v4, 3, 0
	v_lshl_add_u32 v5, v5, 3, 0
	v_lshl_add_u32 v6, v6, 3, 0
	v_lshl_add_u32 v7, v7, 3, 0
	s_waitcnt vmcnt(14)
	ds_write_b64 v3, v[26:27]
	s_waitcnt vmcnt(13)
	ds_write_b64 v4, v[22:23]
	s_waitcnt vmcnt(12)
	ds_write_b64 v5, v[24:25]
	s_waitcnt vmcnt(11)
	ds_write_b64 v6, v[28:29]
	s_waitcnt vmcnt(10)
	ds_write_b64 v7, v[30:31]
	v_mad_u16 v3, 0x78, v59, v58
	v_mad_u16 v4, 0x78, v61, v60
	v_mad_u16 v5, 0x78, v63, v62
	v_mad_u16 v6, 0x78, v65, v64
	v_mad_u16 v7, 0x78, v67, v66
	v_and_b32_e32 v3, 0xffff, v3
	v_and_b32_e32 v4, 0xffff, v4
	v_and_b32_e32 v5, 0xffff, v5
	v_and_b32_e32 v6, 0xffff, v6
	v_and_b32_e32 v7, 0xffff, v7
	v_lshl_add_u32 v3, v3, 3, 0
	v_lshl_add_u32 v4, v4, 3, 0
	v_lshl_add_u32 v5, v5, 3, 0
	v_lshl_add_u32 v6, v6, 3, 0
	v_lshl_add_u32 v7, v7, 3, 0
	s_waitcnt vmcnt(9)
	ds_write_b64 v3, v[32:33]
	s_waitcnt vmcnt(8)
	ds_write_b64 v4, v[34:35]
	s_waitcnt vmcnt(7)
	ds_write_b64 v5, v[36:37]
	s_waitcnt vmcnt(6)
	ds_write_b64 v6, v[43:44]
	s_waitcnt vmcnt(5)
	ds_write_b64 v7, v[41:42]
	v_mad_u16 v3, 0x78, v69, v68
	v_mad_u16 v4, 0x78, v71, v70
	v_mad_u16 v5, 0x78, v73, v72
	v_mad_u16 v6, 0x78, v76, v74
	v_mad_u16 v7, 0x78, v77, v75
	v_and_b32_e32 v3, 0xffff, v3
	v_and_b32_e32 v4, 0xffff, v4
	v_and_b32_e32 v5, 0xffff, v5
	v_and_b32_e32 v6, 0xffff, v6
	v_and_b32_e32 v7, 0xffff, v7
	v_lshl_add_u32 v3, v3, 3, 0
	v_lshl_add_u32 v4, v4, 3, 0
	v_lshl_add_u32 v5, v5, 3, 0
	v_lshl_add_u32 v6, v6, 3, 0
	v_lshl_add_u32 v7, v7, 3, 0
	s_waitcnt vmcnt(4)
	ds_write_b64 v3, v[45:46]
	s_waitcnt vmcnt(3)
	ds_write_b64 v4, v[47:48]
	s_waitcnt vmcnt(2)
	ds_write_b64 v5, v[38:39]
	s_waitcnt vmcnt(1)
	ds_write_b64 v6, v[49:50]
	s_waitcnt vmcnt(0)
	ds_write_b64 v7, v[1:2]
.LBB0_10:
	v_mov_b32_e32 v1, 0x223
	s_waitcnt lgkmcnt(0)
	s_barrier
	buffer_gl0_inv
	v_mul_u32_u24_sdwa v1, v0, v1 dst_sel:DWORD dst_unused:UNUSED_PAD src0_sel:WORD_0 src1_sel:DWORD
	v_lshrrev_b32_e32 v1, 16, v1
	v_mul_lo_u16 v1, 0x78, v1
	v_sub_nc_u16 v1, v0, v1
	v_and_b32_e32 v42, 0xffff, v1
	v_add_nc_u32_e32 v1, s7, v42
	v_cmp_gt_u32_e32 vcc_lo, s10, v1
	s_or_b32 s3, s3, vcc_lo
	s_and_saveexec_b32 s10, s3
	s_cbranch_execz .LBB0_12
; %bb.11:
	v_mul_hi_u32 v43, 0x2222223, v0
	v_lshlrev_b32_e32 v0, 3, v42
	s_load_dwordx2 s[4:5], s[4:5], 0x60
	s_mul_i32 s12, s6, s14
	s_mul_i32 s3, s1, s7
	s_mul_hi_u32 s6, s0, s7
	s_mul_i32 s14, s0, s7
	s_add_i32 s15, s6, s3
	v_mul_u32_u24_e32 v1, 0x3c0, v43
	s_mul_i32 s3, s9, s11
	s_mul_hi_u32 s6, s8, s11
	s_mov_b32 s13, 0
	s_add_i32 s7, s6, s3
	v_add3_u32 v16, 0, v1, v0
	s_mul_i32 s6, s8, s11
	ds_read2_b64 v[12:15], v16 offset1:120
	ds_read_b64 v[30:31], v16 offset:15360
	v_add_nc_u32_e32 v0, 0x2400, v16
	v_add_nc_u32_e32 v1, 0x1400, v16
	;; [unrolled: 1-line block ×4, first 2 shown]
	ds_read2_b64 v[8:11], v0 offset0:48 offset1:168
	ds_read2_b64 v[18:21], v1 offset0:80 offset1:200
	v_add_nc_u32_e32 v0, 0x3400, v16
	v_add_nc_u32_e32 v17, 0x400, v16
	ds_read2_b64 v[4:7], v2 offset0:32 offset1:152
	ds_read2_b64 v[22:25], v3 offset0:96 offset1:216
	ds_read2_b64 v[0:3], v0 offset0:16 offset1:136
	ds_read2_b64 v[26:29], v17 offset0:112 offset1:232
	v_add_nc_u32_e32 v16, 0x1c00, v16
	s_waitcnt lgkmcnt(0)
	v_add_f32_e32 v71, v31, v15
	v_sub_f32_e32 v53, v14, v30
	v_sub_f32_e32 v66, v15, v31
	v_add_f32_e32 v15, v13, v15
	v_add_f32_e32 v46, v30, v14
	v_mul_f32_e32 v32, 0xbf7ba420, v71
	v_add_f32_e32 v14, v12, v14
	v_mul_f32_e32 v34, 0xbe3c28d5, v66
	v_add_f32_e32 v64, v7, v23
	v_add_f32_e32 v62, v5, v25
	v_add_f32_e32 v74, v3, v27
	v_add_f32_e32 v67, v1, v29
	v_sub_f32_e32 v55, v26, v2
	v_fmamk_f32 v17, v53, 0x3e3c28d5, v32
	v_sub_f32_e32 v54, v28, v0
	v_mul_f32_e32 v33, 0x3f6eb680, v74
	v_sub_f32_e32 v69, v27, v3
	v_add_f32_e32 v27, v15, v27
	v_mul_f32_e32 v35, 0xbf59a7d5, v67
	v_add_f32_e32 v17, v13, v17
	v_fmamk_f32 v15, v55, 0xbeb8f4ab, v33
	v_sub_f32_e32 v52, v22, v6
	v_add_f32_e32 v50, v2, v26
	v_add_f32_e32 v26, v14, v26
	v_mul_f32_e32 v37, 0x3f3d2fb0, v64
	v_fmamk_f32 v14, v54, 0x3f06c442, v35
	v_add_f32_e32 v15, v15, v17
	v_add_f32_e32 v59, v11, v19
	v_sub_f32_e32 v51, v24, v4
	v_sub_f32_e32 v68, v29, v1
	v_mul_f32_e32 v38, 0xbf1a4643, v62
	v_mul_f32_e32 v39, 0x3eb8f4ab, v69
	v_fmamk_f32 v17, v46, 0xbf7ba420, v34
	v_fmamk_f32 v40, v52, 0xbf2c7751, v37
	v_add_f32_e32 v14, v14, v15
	v_sub_f32_e32 v49, v18, v10
	v_sub_f32_e32 v65, v23, v7
	v_add_f32_e32 v47, v0, v28
	v_mul_f32_e32 v36, 0x3ee437d1, v59
	v_mul_f32_e32 v41, 0xbf06c442, v68
	v_fmamk_f32 v15, v50, 0x3f6eb680, v39
	v_add_f32_e32 v17, v12, v17
	v_fmamk_f32 v56, v51, 0x3f4c4adb, v38
	v_add_f32_e32 v14, v40, v14
	v_sub_f32_e32 v63, v25, v5
	v_add_f32_e32 v45, v6, v22
	v_fmamk_f32 v57, v47, 0xbf59a7d5, v41
	v_fmamk_f32 v61, v49, 0xbf65296c, v36
	v_add_f32_e32 v15, v15, v17
	v_add_f32_e32 v14, v56, v14
	v_mul_f32_e32 v76, 0x3f2c7751, v65
	v_sub_f32_e32 v60, v19, v11
	v_add_f32_e32 v44, v4, v24
	v_mul_f32_e32 v77, 0xbf4c4adb, v63
	v_add_f32_e32 v57, v57, v15
	v_add_f32_e32 v61, v61, v14
	ds_read2_b64 v[14:17], v16 offset0:64 offset1:184
	v_fmamk_f32 v72, v45, 0x3f3d2fb0, v76
	v_add_f32_e32 v29, v27, v29
	v_add_f32_e32 v56, v10, v18
	v_mul_f32_e32 v78, 0x3f65296c, v60
	v_fmamk_f32 v27, v44, 0xbf1a4643, v77
	v_fmac_f32_e32 v32, 0xbe3c28d5, v53
	v_add_f32_e32 v72, v72, v57
	v_sub_f32_e32 v73, v21, v9
	v_add_f32_e32 v58, v9, v21
	v_add_f32_e32 v57, v8, v20
	v_fmac_f32_e32 v33, 0x3eb8f4ab, v55
	v_add_f32_e32 v32, v13, v32
	v_fmamk_f32 v75, v56, 0x3ee437d1, v78
	v_add_f32_e32 v27, v27, v72
	v_mul_f32_e32 v79, 0xbf763a35, v73
	v_sub_f32_e32 v48, v20, v8
	v_mul_f32_e32 v40, 0xbe8c1d8e, v58
	v_add_f32_e32 v28, v26, v28
	v_add_f32_e32 v26, v33, v32
	v_fmac_f32_e32 v35, 0xbf06c442, v54
	v_add_f32_e32 v27, v75, v27
	v_fmamk_f32 v32, v57, 0xbe8c1d8e, v79
	v_fmamk_f32 v70, v48, 0x3f763a35, v40
	s_waitcnt lgkmcnt(0)
	v_add_f32_e32 v72, v17, v15
	v_add_f32_e32 v26, v35, v26
	v_fmac_f32_e32 v37, 0x3f2c7751, v52
	v_add_f32_e32 v32, v32, v27
	v_sub_f32_e32 v75, v15, v17
	v_fma_f32 v27, 0xbf7ba420, v46, -v34
	v_add_f32_e32 v33, v70, v61
	v_mul_f32_e32 v35, 0x3dbcf732, v72
	v_sub_f32_e32 v70, v14, v16
	v_add_f32_e32 v26, v37, v26
	v_fmac_f32_e32 v38, 0xbf4c4adb, v51
	v_add_f32_e32 v61, v16, v14
	v_mul_f32_e32 v34, 0x3f7ee86f, v75
	v_fma_f32 v37, 0x3f6eb680, v50, -v39
	v_add_f32_e32 v27, v12, v27
	v_add_f32_e32 v26, v38, v26
	v_fmac_f32_e32 v36, 0x3f65296c, v49
	v_fmamk_f32 v38, v70, 0xbf7ee86f, v35
	v_fmamk_f32 v39, v61, 0x3dbcf732, v34
	v_add_f32_e32 v37, v37, v27
	v_fma_f32 v41, 0xbf59a7d5, v47, -v41
	v_add_f32_e32 v36, v36, v26
	v_add_f32_e32 v27, v38, v33
	v_add_f32_e32 v26, v39, v32
	v_fma_f32 v33, 0x3f3d2fb0, v45, -v76
	v_add_f32_e32 v32, v41, v37
	v_add_f32_e32 v23, v29, v23
	;; [unrolled: 1-line block ×3, first 2 shown]
	v_mul_f32_e32 v29, 0xbf59a7d5, v71
	v_fmac_f32_e32 v40, 0xbf763a35, v48
	v_add_f32_e32 v28, v33, v32
	v_fma_f32 v32, 0xbf1a4643, v44, -v77
	v_add_f32_e32 v25, v23, v25
	v_add_f32_e32 v24, v22, v24
	v_mul_f32_e32 v33, 0x3ee437d1, v74
	v_fmamk_f32 v22, v53, 0x3f06c442, v29
	v_fma_f32 v23, 0x3ee437d1, v56, -v78
	v_add_f32_e32 v28, v32, v28
	v_mul_f32_e32 v32, 0x3dbcf732, v67
	v_fmamk_f32 v37, v55, 0xbf65296c, v33
	v_add_f32_e32 v22, v13, v22
	v_fma_f32 v38, 0xbe8c1d8e, v57, -v79
	v_add_f32_e32 v23, v23, v28
	v_add_f32_e32 v36, v40, v36
	v_fmac_f32_e32 v35, 0x3f7ee86f, v70
	v_mul_f32_e32 v28, 0xbf1a4643, v64
	v_fmamk_f32 v39, v54, 0x3f7ee86f, v32
	v_add_f32_e32 v22, v37, v22
	v_fma_f32 v34, 0x3dbcf732, v61, -v34
	v_add_f32_e32 v37, v38, v23
	v_mul_f32_e32 v41, 0xbf06c442, v66
	v_fmamk_f32 v40, v52, 0xbf4c4adb, v28
	v_add_f32_e32 v39, v39, v22
	v_add_f32_e32 v23, v35, v36
	;; [unrolled: 1-line block ×3, first 2 shown]
	v_mul_f32_e32 v34, 0x3f65296c, v69
	v_fmamk_f32 v35, v46, 0xbf59a7d5, v41
	v_mul_f32_e32 v38, 0x3f6eb680, v62
	v_add_f32_e32 v37, v40, v39
	v_mul_f32_e32 v39, 0xbf7ee86f, v68
	v_fmamk_f32 v40, v50, 0x3ee437d1, v34
	v_add_f32_e32 v35, v12, v35
	v_fmamk_f32 v36, v51, 0x3eb8f4ab, v38
	v_mul_f32_e32 v79, 0xbf7ba420, v59
	v_add_f32_e32 v19, v25, v19
	v_fmamk_f32 v25, v47, 0x3dbcf732, v39
	v_add_f32_e32 v35, v40, v35
	v_mul_f32_e32 v40, 0x3f4c4adb, v65
	v_mul_f32_e32 v78, 0x3f3d2fb0, v58
	v_add_f32_e32 v18, v24, v18
	v_add_f32_e32 v24, v36, v37
	v_fmamk_f32 v36, v49, 0x3e3c28d5, v79
	v_add_f32_e32 v25, v25, v35
	v_fmamk_f32 v35, v45, 0xbf1a4643, v40
	v_add_f32_e32 v76, v19, v21
	v_mul_f32_e32 v21, 0xbeb8f4ab, v63
	v_fmac_f32_e32 v29, 0xbf06c442, v53
	v_add_f32_e32 v77, v18, v20
	v_fmamk_f32 v18, v48, 0xbf2c7751, v78
	v_add_f32_e32 v19, v35, v25
	v_fmamk_f32 v20, v44, 0x3f6eb680, v21
	v_mul_f32_e32 v25, 0xbe3c28d5, v60
	v_add_f32_e32 v24, v36, v24
	v_fmac_f32_e32 v33, 0x3f65296c, v55
	v_add_f32_e32 v29, v13, v29
	v_add_f32_e32 v19, v20, v19
	v_fmamk_f32 v20, v56, 0xbf7ba420, v25
	v_mul_f32_e32 v35, 0x3f2c7751, v73
	v_add_f32_e32 v18, v18, v24
	v_add_f32_e32 v24, v33, v29
	v_fmac_f32_e32 v32, 0xbf7ee86f, v54
	v_add_f32_e32 v19, v20, v19
	v_fmamk_f32 v20, v57, 0x3f3d2fb0, v35
	v_mul_f32_e32 v29, 0xbe8c1d8e, v72
	v_mul_f32_e32 v33, 0xbf763a35, v75
	v_add_f32_e32 v24, v32, v24
	v_fmac_f32_e32 v28, 0x3f4c4adb, v52
	v_fma_f32 v36, 0xbf59a7d5, v46, -v41
	v_add_f32_e32 v20, v20, v19
	v_fmamk_f32 v19, v70, 0x3f763a35, v29
	v_fmamk_f32 v32, v61, 0xbe8c1d8e, v33
	v_add_f32_e32 v24, v28, v24
	v_fmac_f32_e32 v38, 0xbeb8f4ab, v51
	v_fma_f32 v28, 0x3ee437d1, v50, -v34
	v_add_f32_e32 v34, v12, v36
	v_add_f32_e32 v19, v19, v18
	;; [unrolled: 1-line block ×4, first 2 shown]
	v_fma_f32 v24, 0x3dbcf732, v47, -v39
	v_add_f32_e32 v28, v28, v34
	v_mul_f32_e32 v32, 0xbf1a4643, v71
	v_fma_f32 v34, 0xbf1a4643, v45, -v40
	v_mul_f32_e32 v37, 0x3f6eb680, v67
	v_fmac_f32_e32 v79, 0xbe3c28d5, v49
	v_add_f32_e32 v24, v24, v28
	v_mul_f32_e32 v28, 0xbe8c1d8e, v74
	v_fmamk_f32 v36, v53, 0x3f4c4adb, v32
	v_fma_f32 v21, 0x3f6eb680, v44, -v21
	v_fmac_f32_e32 v78, 0x3f2c7751, v48
	v_add_f32_e32 v24, v34, v24
	v_fmamk_f32 v34, v55, 0xbf763a35, v28
	v_add_f32_e32 v36, v13, v36
	v_add_f32_e32 v20, v79, v20
	v_fma_f32 v25, 0xbf7ba420, v56, -v25
	v_add_f32_e32 v21, v21, v24
	v_mul_f32_e32 v24, 0xbf59a7d5, v64
	v_add_f32_e32 v34, v34, v36
	v_fmamk_f32 v36, v54, 0x3eb8f4ab, v37
	v_add_f32_e32 v20, v78, v20
	v_fmac_f32_e32 v29, 0xbf763a35, v70
	v_fma_f32 v35, 0x3f3d2fb0, v57, -v35
	v_add_f32_e32 v21, v25, v21
	v_add_f32_e32 v34, v36, v34
	v_mul_f32_e32 v36, 0xbf4c4adb, v66
	v_fmamk_f32 v25, v52, 0x3f06c442, v24
	v_mul_f32_e32 v38, 0x3dbcf732, v62
	v_mul_f32_e32 v41, 0x3f763a35, v69
	v_add_f32_e32 v35, v35, v21
	v_fmamk_f32 v40, v46, 0xbf1a4643, v36
	v_mul_f32_e32 v39, 0x3f3d2fb0, v59
	v_add_f32_e32 v25, v25, v34
	v_fmamk_f32 v34, v51, 0xbf7ee86f, v38
	v_add_f32_e32 v21, v29, v20
	v_add_f32_e32 v20, v12, v40
	v_fmamk_f32 v29, v50, 0xbe8c1d8e, v41
	v_mul_f32_e32 v40, 0xbeb8f4ab, v68
	v_fmamk_f32 v79, v49, 0x3f2c7751, v39
	v_add_f32_e32 v25, v34, v25
	v_mul_f32_e32 v34, 0xbf06c442, v65
	v_add_f32_e32 v20, v29, v20
	v_fmamk_f32 v29, v47, 0x3f6eb680, v40
	v_fmac_f32_e32 v32, 0xbf4c4adb, v53
	v_fma_f32 v33, 0xbe8c1d8e, v61, -v33
	v_add_f32_e32 v25, v79, v25
	v_fmamk_f32 v79, v45, 0xbf59a7d5, v34
	v_add_f32_e32 v29, v29, v20
	v_mul_f32_e32 v81, 0x3f7ee86f, v63
	v_fmac_f32_e32 v28, 0x3f763a35, v55
	v_add_f32_e32 v32, v13, v32
	v_add_f32_e32 v20, v33, v35
	;; [unrolled: 1-line block ×3, first 2 shown]
	v_fmamk_f32 v33, v44, 0x3dbcf732, v81
	v_fmac_f32_e32 v37, 0xbeb8f4ab, v54
	v_add_f32_e32 v28, v28, v32
	v_fma_f32 v32, 0xbf1a4643, v46, -v36
	v_fma_f32 v35, 0xbe8c1d8e, v50, -v41
	v_add_f32_e32 v29, v33, v29
	v_mul_f32_e32 v33, 0xbf2c7751, v60
	v_mul_f32_e32 v78, 0xbf7ba420, v58
	v_add_f32_e32 v32, v12, v32
	v_add_f32_e32 v28, v37, v28
	v_fmac_f32_e32 v24, 0xbf06c442, v52
	v_fmamk_f32 v36, v56, 0x3f3d2fb0, v33
	v_mul_f32_e32 v37, 0xbe3c28d5, v73
	v_add_f32_e32 v32, v35, v32
	v_fma_f32 v35, 0x3f6eb680, v47, -v40
	v_fmamk_f32 v80, v48, 0x3e3c28d5, v78
	v_add_f32_e32 v24, v24, v28
	v_add_f32_e32 v28, v36, v29
	v_fmamk_f32 v29, v57, 0xbf7ba420, v37
	v_add_f32_e32 v32, v35, v32
	v_fma_f32 v34, 0xbf59a7d5, v45, -v34
	v_mul_f32_e32 v35, 0x3ee437d1, v72
	v_add_f32_e32 v25, v80, v25
	v_fmac_f32_e32 v38, 0x3f7ee86f, v51
	v_add_f32_e32 v28, v29, v28
	v_add_f32_e32 v29, v34, v32
	v_fma_f32 v32, 0x3dbcf732, v44, -v81
	v_fmamk_f32 v34, v70, 0xbf65296c, v35
	v_mul_f32_e32 v36, 0xbe8c1d8e, v71
	v_add_f32_e32 v24, v38, v24
	v_fmac_f32_e32 v39, 0xbf2c7751, v49
	v_fma_f32 v33, 0x3f3d2fb0, v56, -v33
	v_add_f32_e32 v29, v32, v29
	v_add_f32_e32 v25, v34, v25
	v_mul_f32_e32 v34, 0xbf59a7d5, v74
	v_fmamk_f32 v38, v53, 0x3f763a35, v36
	v_add_f32_e32 v24, v39, v24
	v_add_f32_e32 v29, v33, v29
	v_mul_f32_e32 v39, 0x3f3d2fb0, v67
	v_fmamk_f32 v33, v55, 0xbf06c442, v34
	v_add_f32_e32 v38, v13, v38
	v_mul_f32_e32 v32, 0x3f65296c, v75
	v_fma_f32 v37, 0xbf7ba420, v57, -v37
	v_fmamk_f32 v41, v54, 0xbf2c7751, v39
	v_mul_f32_e32 v79, 0xbf763a35, v66
	v_add_f32_e32 v33, v33, v38
	v_mul_f32_e32 v38, 0x3ee437d1, v64
	v_fmac_f32_e32 v78, 0xbe3c28d5, v48
	v_fmamk_f32 v40, v61, 0x3ee437d1, v32
	v_add_f32_e32 v29, v37, v29
	v_add_f32_e32 v33, v41, v33
	v_fmamk_f32 v37, v52, 0x3f65296c, v38
	v_mul_f32_e32 v41, 0xbf7ba420, v62
	v_fmamk_f32 v80, v46, 0xbe8c1d8e, v79
	v_mul_f32_e32 v81, 0x3f06c442, v69
	v_fmac_f32_e32 v35, 0x3f65296c, v70
	v_add_f32_e32 v78, v78, v24
	v_add_f32_e32 v24, v40, v28
	;; [unrolled: 1-line block ×3, first 2 shown]
	v_fmamk_f32 v37, v51, 0x3e3c28d5, v41
	v_add_f32_e32 v40, v12, v80
	v_fmamk_f32 v80, v50, 0xbf59a7d5, v81
	v_mul_f32_e32 v82, 0x3f2c7751, v68
	v_add_f32_e32 v33, v35, v78
	v_add_f32_e32 v28, v37, v28
	v_mul_f32_e32 v78, 0xbf65296c, v65
	v_add_f32_e32 v37, v80, v40
	v_fmamk_f32 v40, v47, 0x3f3d2fb0, v82
	v_fmac_f32_e32 v36, 0xbf763a35, v53
	v_mul_f32_e32 v84, 0xbe3c28d5, v63
	v_fmac_f32_e32 v34, 0x3f06c442, v55
	v_fma_f32 v32, 0x3ee437d1, v61, -v32
	v_add_f32_e32 v37, v40, v37
	v_fmamk_f32 v40, v45, 0x3ee437d1, v78
	v_add_f32_e32 v36, v13, v36
	v_mul_f32_e32 v35, 0x3dbcf732, v59
	v_fmac_f32_e32 v39, 0x3f2c7751, v54
	v_mul_f32_e32 v83, 0x3f6eb680, v58
	v_add_f32_e32 v37, v40, v37
	v_fmamk_f32 v40, v44, 0xbf7ba420, v84
	v_add_f32_e32 v34, v34, v36
	v_mul_f32_e32 v36, 0x3f7ee86f, v60
	v_fmamk_f32 v80, v49, 0xbf7ee86f, v35
	v_add_f32_e32 v32, v32, v29
	v_add_f32_e32 v29, v40, v37
	;; [unrolled: 1-line block ×3, first 2 shown]
	v_fmamk_f32 v37, v56, 0x3dbcf732, v36
	v_fma_f32 v39, 0xbe8c1d8e, v46, -v79
	v_mul_f32_e32 v40, 0xbeb8f4ab, v73
	v_fmac_f32_e32 v38, 0xbf65296c, v52
	v_add_f32_e32 v28, v80, v28
	v_fmamk_f32 v80, v48, 0x3eb8f4ab, v83
	v_add_f32_e32 v29, v37, v29
	v_fma_f32 v37, 0xbf59a7d5, v50, -v81
	v_add_f32_e32 v39, v12, v39
	v_fmamk_f32 v79, v57, 0x3f6eb680, v40
	v_add_f32_e32 v34, v38, v34
	v_mul_f32_e32 v38, 0xbf1a4643, v72
	v_fmac_f32_e32 v41, 0xbe3c28d5, v51
	v_add_f32_e32 v28, v80, v28
	v_add_f32_e32 v37, v37, v39
	v_fma_f32 v80, 0x3f3d2fb0, v47, -v82
	v_add_f32_e32 v79, v79, v29
	v_fmamk_f32 v29, v70, 0x3f4c4adb, v38
	v_add_f32_e32 v34, v41, v34
	v_mul_f32_e32 v41, 0x3dbcf732, v71
	v_mul_f32_e32 v39, 0xbf4c4adb, v75
	v_add_f32_e32 v37, v80, v37
	v_fma_f32 v78, 0x3ee437d1, v45, -v78
	v_add_f32_e32 v29, v29, v28
	v_fmamk_f32 v28, v53, 0x3f7ee86f, v41
	v_mul_f32_e32 v80, 0xbf7ba420, v74
	v_fmamk_f32 v81, v61, 0xbf1a4643, v39
	v_add_f32_e32 v37, v78, v37
	v_fma_f32 v78, 0xbf7ba420, v44, -v84
	v_add_f32_e32 v82, v13, v28
	v_fmamk_f32 v84, v55, 0x3e3c28d5, v80
	v_mul_f32_e32 v85, 0xbe8c1d8e, v67
	v_fmac_f32_e32 v35, 0x3f7ee86f, v49
	v_add_f32_e32 v28, v81, v79
	v_add_f32_e32 v37, v78, v37
	v_fma_f32 v36, 0x3dbcf732, v56, -v36
	v_add_f32_e32 v78, v84, v82
	v_fmamk_f32 v79, v54, 0xbf763a35, v85
	v_mul_f32_e32 v81, 0x3f6eb680, v64
	v_add_f32_e32 v34, v35, v34
	v_add_f32_e32 v35, v36, v37
	v_fmac_f32_e32 v83, 0xbeb8f4ab, v48
	v_add_f32_e32 v36, v79, v78
	v_fmamk_f32 v37, v52, 0xbeb8f4ab, v81
	v_mul_f32_e32 v78, 0xbf7ee86f, v66
	v_mul_f32_e32 v79, 0x3ee437d1, v62
	v_fma_f32 v40, 0x3f6eb680, v57, -v40
	v_mul_f32_e32 v82, 0xbe3c28d5, v69
	v_add_f32_e32 v36, v37, v36
	v_fmamk_f32 v37, v46, 0x3dbcf732, v78
	v_add_f32_e32 v34, v83, v34
	v_fmamk_f32 v83, v51, 0x3f65296c, v79
	;; [unrolled: 2-line block ×3, first 2 shown]
	v_add_f32_e32 v37, v12, v37
	v_mul_f32_e32 v86, 0x3f763a35, v68
	v_fmac_f32_e32 v38, 0xbf4c4adb, v70
	v_fma_f32 v39, 0xbf1a4643, v61, -v39
	v_add_f32_e32 v83, v83, v36
	v_add_f32_e32 v36, v40, v37
	v_fmamk_f32 v40, v47, 0xbe8c1d8e, v86
	v_mul_f32_e32 v87, 0x3eb8f4ab, v65
	v_add_f32_e32 v37, v38, v34
	v_fma_f32 v78, 0x3dbcf732, v46, -v78
	v_mul_f32_e32 v84, 0xbf59a7d5, v59
	v_add_f32_e32 v34, v40, v36
	v_fmamk_f32 v38, v45, 0x3f6eb680, v87
	v_add_f32_e32 v36, v39, v35
	v_mul_f32_e32 v35, 0xbf65296c, v63
	v_add_f32_e32 v78, v12, v78
	v_fmac_f32_e32 v41, 0xbf7ee86f, v53
	v_add_f32_e32 v34, v38, v34
	v_fmamk_f32 v88, v49, 0x3f06c442, v84
	v_fmamk_f32 v38, v44, 0x3ee437d1, v35
	v_fmac_f32_e32 v80, 0xbe3c28d5, v55
	v_add_f32_e32 v41, v13, v41
	v_mul_f32_e32 v89, 0xbf1a4643, v58
	v_add_f32_e32 v39, v88, v83
	v_add_f32_e32 v34, v38, v34
	v_fma_f32 v38, 0xbf7ba420, v50, -v82
	v_mul_f32_e32 v83, 0xbf06c442, v60
	v_add_f32_e32 v41, v80, v41
	v_fmac_f32_e32 v85, 0x3f763a35, v54
	v_fma_f32 v35, 0x3ee437d1, v44, -v35
	v_add_f32_e32 v38, v38, v78
	v_fma_f32 v78, 0xbe8c1d8e, v47, -v86
	v_fmamk_f32 v40, v48, 0xbf4c4adb, v89
	v_fmamk_f32 v82, v56, 0xbf59a7d5, v83
	v_mul_f32_e32 v80, 0x3f4c4adb, v73
	v_add_f32_e32 v41, v85, v41
	v_add_f32_e32 v38, v78, v38
	v_fma_f32 v78, 0x3f6eb680, v45, -v87
	v_fmac_f32_e32 v81, 0x3eb8f4ab, v52
	v_add_f32_e32 v34, v82, v34
	v_fmamk_f32 v82, v57, 0xbf1a4643, v80
	v_add_f32_e32 v39, v40, v39
	v_add_f32_e32 v38, v78, v38
	v_add_f32_e32 v40, v81, v41
	v_fmac_f32_e32 v79, 0xbf65296c, v51
	v_mul_f32_e32 v41, 0x3f3d2fb0, v72
	v_fma_f32 v80, 0xbf1a4643, v57, -v80
	v_add_f32_e32 v35, v35, v38
	v_fma_f32 v38, 0xbf59a7d5, v56, -v83
	v_add_f32_e32 v40, v79, v40
	v_fmac_f32_e32 v84, 0xbf06c442, v49
	v_mul_f32_e32 v78, 0x3f2c7751, v75
	v_fmamk_f32 v79, v70, 0xbf2c7751, v41
	v_add_f32_e32 v38, v38, v35
	v_mul_f32_e32 v81, 0x3ee437d1, v71
	v_add_f32_e32 v34, v82, v34
	v_add_f32_e32 v40, v84, v40
	v_fmamk_f32 v82, v61, 0x3f3d2fb0, v78
	v_add_f32_e32 v38, v80, v38
	v_mul_f32_e32 v80, 0xbf65296c, v66
	v_fmac_f32_e32 v89, 0x3f4c4adb, v48
	v_add_f32_e32 v35, v79, v39
	v_fmamk_f32 v39, v53, 0x3f65296c, v81
	v_mul_f32_e32 v79, 0xbf1a4643, v74
	v_fmamk_f32 v85, v46, 0x3ee437d1, v80
	v_mul_f32_e32 v86, 0xbf4c4adb, v69
	v_add_f32_e32 v34, v82, v34
	v_add_f32_e32 v40, v89, v40
	;; [unrolled: 1-line block ×3, first 2 shown]
	v_fmamk_f32 v82, v55, 0x3f4c4adb, v79
	v_mul_f32_e32 v83, 0xbf7ba420, v67
	v_add_f32_e32 v85, v12, v85
	v_fmamk_f32 v88, v50, 0xbf1a4643, v86
	v_mul_f32_e32 v89, 0x3e3c28d5, v68
	v_add_f32_e32 v39, v82, v39
	;; [unrolled: 3-line block ×5, first 2 shown]
	v_fmamk_f32 v88, v45, 0xbe8c1d8e, v91
	v_mul_f32_e32 v93, 0x3f2c7751, v63
	v_fmac_f32_e32 v41, 0x3f2c7751, v70
	v_fma_f32 v78, 0x3f3d2fb0, v61, -v78
	v_add_f32_e32 v39, v82, v39
	v_fmamk_f32 v82, v51, 0xbf2c7751, v87
	v_mul_f32_e32 v90, 0x3f6eb680, v59
	v_add_f32_e32 v85, v88, v85
	v_fmamk_f32 v88, v44, 0x3f3d2fb0, v93
	v_fmac_f32_e32 v81, 0xbf65296c, v53
	v_fma_f32 v80, 0x3ee437d1, v46, -v80
	v_add_f32_e32 v39, v82, v39
	v_fmamk_f32 v82, v49, 0x3eb8f4ab, v90
	v_mul_f32_e32 v92, 0x3dbcf732, v58
	v_add_f32_e32 v41, v41, v40
	v_add_f32_e32 v40, v78, v38
	;; [unrolled: 1-line block ×3, first 2 shown]
	v_fmac_f32_e32 v79, 0xbf4c4adb, v55
	v_add_f32_e32 v81, v13, v81
	v_fma_f32 v85, 0xbf1a4643, v50, -v86
	v_add_f32_e32 v80, v12, v80
	v_add_f32_e32 v39, v82, v39
	v_fmamk_f32 v82, v48, 0x3f7ee86f, v92
	v_mul_f32_e32 v38, 0xbeb8f4ab, v60
	v_add_f32_e32 v79, v79, v81
	v_fmac_f32_e32 v83, 0x3e3c28d5, v54
	v_add_f32_e32 v80, v85, v80
	v_fma_f32 v81, 0xbf7ba420, v47, -v89
	v_add_f32_e32 v39, v82, v39
	v_fmamk_f32 v82, v56, 0x3f6eb680, v38
	v_mul_f32_e32 v86, 0xbf59a7d5, v72
	v_add_f32_e32 v79, v83, v79
	v_fmac_f32_e32 v84, 0x3f763a35, v52
	v_add_f32_e32 v80, v81, v80
	v_fma_f32 v81, 0xbe8c1d8e, v45, -v91
	v_add_f32_e32 v78, v82, v78
	v_mul_f32_e32 v82, 0xbf7ee86f, v73
	v_fmamk_f32 v83, v70, 0x3f06c442, v86
	v_add_f32_e32 v79, v84, v79
	v_fmac_f32_e32 v87, 0x3f2c7751, v51
	v_add_f32_e32 v80, v81, v80
	v_fma_f32 v81, 0x3f3d2fb0, v44, -v93
	v_fmamk_f32 v85, v57, 0x3dbcf732, v82
	v_add_f32_e32 v39, v83, v39
	v_mul_f32_e32 v83, 0xbf06c442, v75
	v_add_f32_e32 v79, v87, v79
	v_fmac_f32_e32 v90, 0xbeb8f4ab, v49
	v_add_f32_e32 v80, v81, v80
	v_fma_f32 v38, 0x3f6eb680, v56, -v38
	v_mul_f32_e32 v84, 0x3f3d2fb0, v71
	v_add_f32_e32 v78, v85, v78
	v_fmamk_f32 v81, v61, 0xbf59a7d5, v83
	v_add_f32_e32 v79, v90, v79
	v_fmac_f32_e32 v92, 0xbf7ee86f, v48
	v_add_f32_e32 v80, v38, v80
	v_fma_f32 v82, 0x3dbcf732, v57, -v82
	v_fmamk_f32 v85, v53, 0x3f2c7751, v84
	v_mul_f32_e32 v87, 0x3dbcf732, v74
	v_add_f32_e32 v38, v81, v78
	v_add_f32_e32 v78, v92, v79
	;; [unrolled: 1-line block ×4, first 2 shown]
	v_fmamk_f32 v81, v55, 0x3f7ee86f, v87
	v_mul_f32_e32 v82, 0xbf1a4643, v67
	v_fmac_f32_e32 v86, 0xbf06c442, v70
	v_mul_f32_e32 v85, 0xbf2c7751, v66
	v_mul_f32_e32 v89, 0xbf7ba420, v64
	v_add_f32_e32 v81, v81, v79
	v_fmamk_f32 v88, v54, 0x3f4c4adb, v82
	v_add_f32_e32 v79, v86, v78
	v_fmamk_f32 v78, v46, 0x3f3d2fb0, v85
	v_mul_f32_e32 v86, 0xbf7ee86f, v69
	v_mul_f32_e32 v90, 0xbf59a7d5, v62
	v_add_f32_e32 v81, v88, v81
	v_fmamk_f32 v88, v52, 0x3e3c28d5, v89
	v_add_f32_e32 v78, v12, v78
	v_fmamk_f32 v91, v50, 0x3dbcf732, v86
	v_mul_f32_e32 v92, 0xbf4c4adb, v68
	v_mul_f32_e32 v93, 0xbe8c1d8e, v59
	v_add_f32_e32 v81, v88, v81
	v_fmamk_f32 v88, v51, 0xbf06c442, v90
	v_fma_f32 v83, 0xbf59a7d5, v61, -v83
	v_add_f32_e32 v78, v91, v78
	v_fmamk_f32 v91, v47, 0xbf1a4643, v92
	v_mul_f32_e32 v94, 0xbe3c28d5, v65
	v_add_f32_e32 v81, v88, v81
	v_fmamk_f32 v88, v49, 0xbf763a35, v93
	v_mul_f32_e32 v95, 0x3ee437d1, v58
	v_add_f32_e32 v91, v91, v78
	v_fmamk_f32 v96, v45, 0xbf7ba420, v94
	v_add_f32_e32 v78, v83, v80
	v_mul_f32_e32 v80, 0x3f06c442, v63
	v_add_f32_e32 v81, v88, v81
	v_fmamk_f32 v83, v48, 0xbf65296c, v95
	v_fmac_f32_e32 v84, 0xbf2c7751, v53
	v_fma_f32 v85, 0x3f3d2fb0, v46, -v85
	v_add_f32_e32 v88, v96, v91
	v_fmamk_f32 v91, v44, 0xbf59a7d5, v80
	v_mul_f32_e32 v96, 0x3f763a35, v60
	v_add_f32_e32 v81, v83, v81
	v_fmac_f32_e32 v87, 0xbf7ee86f, v55
	v_add_f32_e32 v83, v13, v84
	v_fma_f32 v86, 0x3dbcf732, v50, -v86
	v_add_f32_e32 v85, v12, v85
	v_add_f32_e32 v84, v91, v88
	v_fmamk_f32 v88, v56, 0xbe8c1d8e, v96
	v_mul_f32_e32 v91, 0x3f65296c, v73
	v_add_f32_e32 v83, v87, v83
	v_fmac_f32_e32 v82, 0xbf4c4adb, v54
	v_add_f32_e32 v85, v86, v85
	v_fma_f32 v86, 0xbf1a4643, v47, -v92
	v_add_f32_e32 v84, v88, v84
	v_fmamk_f32 v87, v57, 0x3ee437d1, v91
	v_add_f32_e32 v82, v82, v83
	v_mul_f32_e32 v83, 0x3f6eb680, v72
	v_add_f32_e32 v85, v86, v85
	v_fma_f32 v86, 0xbf7ba420, v45, -v94
	v_add_f32_e32 v84, v87, v84
	v_mul_f32_e32 v88, 0x3eb8f4ab, v75
	v_fmamk_f32 v87, v70, 0xbeb8f4ab, v83
	v_fma_f32 v80, 0xbf59a7d5, v44, -v80
	v_add_f32_e32 v85, v86, v85
	v_mul_f32_e32 v66, 0xbeb8f4ab, v66
	v_fmamk_f32 v86, v61, 0x3f6eb680, v88
	v_add_f32_e32 v81, v87, v81
	v_fma_f32 v87, 0xbe8c1d8e, v56, -v96
	v_add_f32_e32 v85, v80, v85
	v_fmac_f32_e32 v89, 0xbe3c28d5, v52
	v_add_f32_e32 v80, v86, v84
	v_fma_f32 v86, 0x3ee437d1, v57, -v91
	v_mul_f32_e32 v69, 0xbf2c7751, v69
	v_add_f32_e32 v85, v87, v85
	v_add_f32_e32 v82, v89, v82
	v_mul_f32_e32 v71, 0x3f6eb680, v71
	v_mul_f32_e32 v68, 0xbf65296c, v68
	v_fmamk_f32 v89, v50, 0x3f3d2fb0, v69
	v_add_f32_e32 v85, v86, v85
	v_fmamk_f32 v86, v46, 0x3f6eb680, v66
	v_fmac_f32_e32 v90, 0x3f06c442, v51
	v_fmamk_f32 v84, v53, 0x3eb8f4ab, v71
	v_mul_f32_e32 v74, 0x3f3d2fb0, v74
	v_mul_f32_e32 v65, 0xbf7ee86f, v65
	v_add_f32_e32 v86, v12, v86
	v_fmac_f32_e32 v71, 0xbeb8f4ab, v53
	v_add_f32_e32 v82, v90, v82
	v_add_f32_e32 v84, v13, v84
	v_fmamk_f32 v87, v55, 0x3f2c7751, v74
	v_add_f32_e32 v86, v89, v86
	v_fmamk_f32 v89, v47, 0x3ee437d1, v68
	v_mul_f32_e32 v67, 0x3ee437d1, v67
	v_mul_f32_e32 v90, 0xbf1a4643, v59
	v_fmac_f32_e32 v74, 0xbf2c7751, v55
	v_add_f32_e32 v13, v13, v71
	v_add_f32_e32 v59, v89, v86
	v_fmamk_f32 v86, v45, 0x3dbcf732, v65
	v_mul_f32_e32 v89, 0xbf59a7d5, v58
	v_fma_f32 v46, 0x3f6eb680, v46, -v66
	v_add_f32_e32 v14, v77, v14
	v_fmac_f32_e32 v95, 0x3f65296c, v48
	v_add_f32_e32 v84, v87, v84
	v_fmamk_f32 v87, v54, 0x3f65296c, v67
	v_mul_f32_e32 v64, 0x3dbcf732, v64
	v_add_f32_e32 v58, v86, v59
	v_fmamk_f32 v86, v48, 0x3f06c442, v89
	v_fmac_f32_e32 v67, 0xbf65296c, v54
	v_add_f32_e32 v13, v74, v13
	v_fmac_f32_e32 v89, 0xbf06c442, v48
	v_add_f32_e32 v15, v76, v15
	v_fma_f32 v48, 0x3f3d2fb0, v50, -v69
	v_add_f32_e32 v12, v12, v46
	v_add_f32_e32 v14, v14, v16
	v_add_f32_e32 v84, v87, v84
	v_fmamk_f32 v87, v52, 0x3f7ee86f, v64
	v_mul_f32_e32 v62, 0xbe8c1d8e, v62
	v_fmac_f32_e32 v64, 0xbf7ee86f, v52
	v_add_f32_e32 v13, v67, v13
	v_add_f32_e32 v15, v15, v17
	v_fma_f32 v16, 0x3ee437d1, v47, -v68
	v_add_f32_e32 v12, v48, v12
	v_add_f32_e32 v8, v14, v8
	v_add_f32_e32 v84, v87, v84
	v_fmamk_f32 v87, v51, 0x3f763a35, v62
	v_mul_f32_e32 v63, 0xbf763a35, v63
	v_fmac_f32_e32 v62, 0xbf763a35, v51
	v_add_f32_e32 v13, v64, v13
	;; [unrolled: 9-line block ×3, first 2 shown]
	v_add_f32_e32 v9, v9, v11
	v_fma_f32 v11, 0xbe8c1d8e, v44, -v63
	v_add_f32_e32 v12, v14, v12
	v_add_f32_e32 v8, v8, v4
	v_mul_f32_e32 v73, 0xbf06c442, v73
	v_add_f32_e32 v13, v90, v13
	v_fma_f32 v10, 0xbf1a4643, v56, -v60
	v_add_f32_e32 v11, v11, v12
	v_add_f32_e32 v9, v9, v5
	;; [unrolled: 1-line block ×3, first 2 shown]
	v_mad_u64_u32 v[4:5], null, s0, v42, 0
	v_mul_f32_e32 v75, 0xbe3c28d5, v75
	v_add_f32_e32 v12, v89, v13
	v_fma_f32 v13, 0xbf59a7d5, v57, -v73
	v_add_f32_e32 v8, v10, v11
	v_add_f32_e32 v7, v9, v7
	;; [unrolled: 1-line block ×3, first 2 shown]
	v_fma_f32 v9, 0xbf7ba420, v61, -v75
	v_mul_f32_e32 v72, 0xbf7ba420, v72
	v_add_f32_e32 v8, v13, v8
	v_add_f32_e32 v7, v7, v1
	v_mad_u64_u32 v[0:1], null, s1, v42, v[5:6]
	v_add_f32_e32 v5, v6, v2
	v_add_f32_e32 v1, v9, v8
	v_mul_u32_u24_e32 v8, 17, v43
	v_add_f32_e32 v3, v7, v3
	s_lshl_b64 s[0:1], s[14:15], 3
	v_add_f32_e32 v6, v5, v30
	v_mov_b32_e32 v5, v0
	v_mul_lo_u32 v8, v8, s2
	s_add_u32 s3, s4, s0
	v_mov_b32_e32 v9, 0
	s_addc_u32 s4, s5, s1
	s_lshl_b64 s[0:1], s[12:13], 3
	v_add_f32_e32 v7, v3, v31
	v_lshlrev_b64 v[3:4], 3, v[4:5]
	s_add_u32 s3, s3, s0
	s_addc_u32 s4, s4, s1
	s_lshl_b64 s[0:1], s[6:7], 3
	v_lshlrev_b64 v[10:11], 3, v[8:9]
	v_add_nc_u32_e32 v8, s2, v8
	s_add_u32 s0, s3, s0
	s_addc_u32 s1, s4, s1
	v_add_co_u32 v30, vcc_lo, s0, v3
	v_fmamk_f32 v55, v70, 0x3e3c28d5, v72
	v_fmac_f32_e32 v72, 0xbe3c28d5, v70
	v_add_co_ci_u32_e32 v31, vcc_lo, s1, v4, vcc_lo
	v_lshlrev_b64 v[3:4], 3, v[8:9]
	v_add_nc_u32_e32 v8, s2, v8
	v_fmac_f32_e32 v93, 0x3f763a35, v49
	v_fmamk_f32 v59, v44, 0xbe8c1d8e, v63
	v_add_f32_e32 v2, v72, v12
	v_add_f32_e32 v84, v87, v84
	v_lshlrev_b64 v[12:13], 3, v[8:9]
	v_add_nc_u32_e32 v8, s2, v8
	v_add_f32_e32 v82, v93, v82
	v_add_f32_e32 v58, v59, v58
	v_fmamk_f32 v87, v56, 0xbf1a4643, v60
	v_add_co_u32 v10, vcc_lo, v30, v10
	v_add_co_ci_u32_e32 v11, vcc_lo, v31, v11, vcc_lo
	v_add_co_u32 v3, vcc_lo, v30, v3
	v_lshlrev_b64 v[14:15], 3, v[8:9]
	v_add_nc_u32_e32 v8, s2, v8
	v_add_f32_e32 v82, v95, v82
	v_fmac_f32_e32 v83, 0x3eb8f4ab, v70
	v_fma_f32 v88, 0x3f6eb680, v61, -v88
	v_add_f32_e32 v58, v87, v58
	v_fmamk_f32 v53, v57, 0xbf59a7d5, v73
	v_add_co_ci_u32_e32 v4, vcc_lo, v31, v4, vcc_lo
	v_add_co_u32 v12, vcc_lo, v30, v12
	v_add_co_ci_u32_e32 v13, vcc_lo, v31, v13, vcc_lo
	v_lshlrev_b64 v[16:17], 3, v[8:9]
	v_add_nc_u32_e32 v8, s2, v8
	v_add_co_u32 v14, vcc_lo, v30, v14
	v_add_f32_e32 v59, v83, v82
	v_add_f32_e32 v53, v53, v58
	;; [unrolled: 1-line block ×3, first 2 shown]
	v_add_co_ci_u32_e32 v15, vcc_lo, v31, v15, vcc_lo
	global_store_dwordx2 v[10:11], v[6:7], off
	global_store_dwordx2 v[3:4], v[1:2], off
	;; [unrolled: 1-line block ×4, first 2 shown]
	v_lshlrev_b64 v[0:1], 3, v[8:9]
	v_add_nc_u32_e32 v8, s2, v8
	v_add_co_u32 v2, vcc_lo, v30, v16
	v_add_co_ci_u32_e32 v3, vcc_lo, v31, v17, vcc_lo
	v_lshlrev_b64 v[4:5], 3, v[8:9]
	v_add_nc_u32_e32 v8, s2, v8
	v_add_co_u32 v0, vcc_lo, v30, v0
	v_add_co_ci_u32_e32 v1, vcc_lo, v31, v1, vcc_lo
	;; [unrolled: 4-line block ×4, first 2 shown]
	global_store_dwordx2 v[2:3], v[40:41], off
	global_store_dwordx2 v[0:1], v[36:37], off
	;; [unrolled: 1-line block ×4, first 2 shown]
	v_lshlrev_b64 v[0:1], 3, v[8:9]
	v_add_nc_u32_e32 v8, s2, v8
	v_add_co_u32 v2, vcc_lo, v30, v10
	v_add_co_ci_u32_e32 v3, vcc_lo, v31, v11, vcc_lo
	v_lshlrev_b64 v[4:5], 3, v[8:9]
	v_add_nc_u32_e32 v8, s2, v8
	v_add_co_u32 v0, vcc_lo, v30, v0
	v_add_co_ci_u32_e32 v1, vcc_lo, v31, v1, vcc_lo
	;; [unrolled: 4-line block ×4, first 2 shown]
	global_store_dwordx2 v[2:3], v[22:23], off
	global_store_dwordx2 v[0:1], v[26:27], off
	;; [unrolled: 1-line block ×4, first 2 shown]
	v_lshlrev_b64 v[0:1], 3, v[8:9]
	v_add_nc_u32_e32 v8, s2, v8
	v_add_co_u32 v2, vcc_lo, v30, v10
	v_add_co_ci_u32_e32 v3, vcc_lo, v31, v11, vcc_lo
	v_lshlrev_b64 v[4:5], 3, v[8:9]
	v_add_nc_u32_e32 v8, s2, v8
	v_add_co_u32 v0, vcc_lo, v30, v0
	v_add_co_ci_u32_e32 v1, vcc_lo, v31, v1, vcc_lo
	;; [unrolled: 4-line block ×3, first 2 shown]
	v_lshlrev_b64 v[8:9], 3, v[8:9]
	v_add_f32_e32 v82, v86, v84
	v_fmamk_f32 v71, v61, 0xbf7ba420, v75
	v_add_co_u32 v6, vcc_lo, v30, v6
	v_add_co_ci_u32_e32 v7, vcc_lo, v31, v7, vcc_lo
	v_add_co_u32 v8, vcc_lo, v30, v8
	v_add_f32_e32 v54, v55, v82
	v_add_f32_e32 v53, v71, v53
	v_add_co_ci_u32_e32 v9, vcc_lo, v31, v9, vcc_lo
	global_store_dwordx2 v[2:3], v[28:29], off
	global_store_dwordx2 v[0:1], v[34:35], off
	;; [unrolled: 1-line block ×5, first 2 shown]
.LBB0_12:
	s_endpgm
	.section	.rodata,"a",@progbits
	.p2align	6, 0x0
	.amdhsa_kernel fft_rtc_fwd_len17_factors_17_wgs_120_tpt_1_sp_op_CI_CI_sbrc_xy_z_unaligned_dirReg
		.amdhsa_group_segment_fixed_size 0
		.amdhsa_private_segment_fixed_size 0
		.amdhsa_kernarg_size 104
		.amdhsa_user_sgpr_count 6
		.amdhsa_user_sgpr_private_segment_buffer 1
		.amdhsa_user_sgpr_dispatch_ptr 0
		.amdhsa_user_sgpr_queue_ptr 0
		.amdhsa_user_sgpr_kernarg_segment_ptr 1
		.amdhsa_user_sgpr_dispatch_id 0
		.amdhsa_user_sgpr_flat_scratch_init 0
		.amdhsa_user_sgpr_private_segment_size 0
		.amdhsa_wavefront_size32 1
		.amdhsa_uses_dynamic_stack 0
		.amdhsa_system_sgpr_private_segment_wavefront_offset 0
		.amdhsa_system_sgpr_workgroup_id_x 1
		.amdhsa_system_sgpr_workgroup_id_y 0
		.amdhsa_system_sgpr_workgroup_id_z 0
		.amdhsa_system_sgpr_workgroup_info 0
		.amdhsa_system_vgpr_workitem_id 0
		.amdhsa_next_free_vgpr 97
		.amdhsa_next_free_sgpr 24
		.amdhsa_reserve_vcc 1
		.amdhsa_reserve_flat_scratch 0
		.amdhsa_float_round_mode_32 0
		.amdhsa_float_round_mode_16_64 0
		.amdhsa_float_denorm_mode_32 3
		.amdhsa_float_denorm_mode_16_64 3
		.amdhsa_dx10_clamp 1
		.amdhsa_ieee_mode 1
		.amdhsa_fp16_overflow 0
		.amdhsa_workgroup_processor_mode 1
		.amdhsa_memory_ordered 1
		.amdhsa_forward_progress 0
		.amdhsa_shared_vgpr_count 0
		.amdhsa_exception_fp_ieee_invalid_op 0
		.amdhsa_exception_fp_denorm_src 0
		.amdhsa_exception_fp_ieee_div_zero 0
		.amdhsa_exception_fp_ieee_overflow 0
		.amdhsa_exception_fp_ieee_underflow 0
		.amdhsa_exception_fp_ieee_inexact 0
		.amdhsa_exception_int_div_zero 0
	.end_amdhsa_kernel
	.text
.Lfunc_end0:
	.size	fft_rtc_fwd_len17_factors_17_wgs_120_tpt_1_sp_op_CI_CI_sbrc_xy_z_unaligned_dirReg, .Lfunc_end0-fft_rtc_fwd_len17_factors_17_wgs_120_tpt_1_sp_op_CI_CI_sbrc_xy_z_unaligned_dirReg
                                        ; -- End function
	.section	.AMDGPU.csdata,"",@progbits
; Kernel info:
; codeLenInByte = 9164
; NumSgprs: 26
; NumVgprs: 97
; ScratchSize: 0
; MemoryBound: 0
; FloatMode: 240
; IeeeMode: 1
; LDSByteSize: 0 bytes/workgroup (compile time only)
; SGPRBlocks: 3
; VGPRBlocks: 12
; NumSGPRsForWavesPerEU: 26
; NumVGPRsForWavesPerEU: 97
; Occupancy: 9
; WaveLimiterHint : 1
; COMPUTE_PGM_RSRC2:SCRATCH_EN: 0
; COMPUTE_PGM_RSRC2:USER_SGPR: 6
; COMPUTE_PGM_RSRC2:TRAP_HANDLER: 0
; COMPUTE_PGM_RSRC2:TGID_X_EN: 1
; COMPUTE_PGM_RSRC2:TGID_Y_EN: 0
; COMPUTE_PGM_RSRC2:TGID_Z_EN: 0
; COMPUTE_PGM_RSRC2:TIDIG_COMP_CNT: 0
	.text
	.p2alignl 6, 3214868480
	.fill 48, 4, 3214868480
	.type	__hip_cuid_8c9af7dcdde224f1,@object ; @__hip_cuid_8c9af7dcdde224f1
	.section	.bss,"aw",@nobits
	.globl	__hip_cuid_8c9af7dcdde224f1
__hip_cuid_8c9af7dcdde224f1:
	.byte	0                               ; 0x0
	.size	__hip_cuid_8c9af7dcdde224f1, 1

	.ident	"AMD clang version 19.0.0git (https://github.com/RadeonOpenCompute/llvm-project roc-6.4.0 25133 c7fe45cf4b819c5991fe208aaa96edf142730f1d)"
	.section	".note.GNU-stack","",@progbits
	.addrsig
	.addrsig_sym __hip_cuid_8c9af7dcdde224f1
	.amdgpu_metadata
---
amdhsa.kernels:
  - .args:
      - .actual_access:  read_only
        .address_space:  global
        .offset:         0
        .size:           8
        .value_kind:     global_buffer
      - .offset:         8
        .size:           8
        .value_kind:     by_value
      - .actual_access:  read_only
        .address_space:  global
        .offset:         16
        .size:           8
        .value_kind:     global_buffer
      - .actual_access:  read_only
        .address_space:  global
        .offset:         24
        .size:           8
        .value_kind:     global_buffer
      - .actual_access:  read_only
        .address_space:  global
        .offset:         32
        .size:           8
        .value_kind:     global_buffer
      - .offset:         40
        .size:           8
        .value_kind:     by_value
      - .actual_access:  read_only
        .address_space:  global
        .offset:         48
        .size:           8
        .value_kind:     global_buffer
      - .actual_access:  read_only
        .address_space:  global
        .offset:         56
        .size:           8
        .value_kind:     global_buffer
      - .offset:         64
        .size:           4
        .value_kind:     by_value
      - .actual_access:  read_only
        .address_space:  global
        .offset:         72
        .size:           8
        .value_kind:     global_buffer
      - .actual_access:  read_only
        .address_space:  global
        .offset:         80
        .size:           8
        .value_kind:     global_buffer
      - .actual_access:  read_only
        .address_space:  global
        .offset:         88
        .size:           8
        .value_kind:     global_buffer
      - .actual_access:  write_only
        .address_space:  global
        .offset:         96
        .size:           8
        .value_kind:     global_buffer
    .group_segment_fixed_size: 0
    .kernarg_segment_align: 8
    .kernarg_segment_size: 104
    .language:       OpenCL C
    .language_version:
      - 2
      - 0
    .max_flat_workgroup_size: 120
    .name:           fft_rtc_fwd_len17_factors_17_wgs_120_tpt_1_sp_op_CI_CI_sbrc_xy_z_unaligned_dirReg
    .private_segment_fixed_size: 0
    .sgpr_count:     26
    .sgpr_spill_count: 0
    .symbol:         fft_rtc_fwd_len17_factors_17_wgs_120_tpt_1_sp_op_CI_CI_sbrc_xy_z_unaligned_dirReg.kd
    .uniform_work_group_size: 1
    .uses_dynamic_stack: false
    .vgpr_count:     97
    .vgpr_spill_count: 0
    .wavefront_size: 32
    .workgroup_processor_mode: 1
amdhsa.target:   amdgcn-amd-amdhsa--gfx1030
amdhsa.version:
  - 1
  - 2
...

	.end_amdgpu_metadata
